;; amdgpu-corpus repo=ROCm/rocFFT kind=compiled arch=gfx906 opt=O3
	.text
	.amdgcn_target "amdgcn-amd-amdhsa--gfx906"
	.amdhsa_code_object_version 6
	.protected	fft_rtc_fwd_len270_factors_10_3_3_3_wgs_108_tpt_27_halfLds_half_op_CI_CI_unitstride_sbrr_R2C_dirReg ; -- Begin function fft_rtc_fwd_len270_factors_10_3_3_3_wgs_108_tpt_27_halfLds_half_op_CI_CI_unitstride_sbrr_R2C_dirReg
	.globl	fft_rtc_fwd_len270_factors_10_3_3_3_wgs_108_tpt_27_halfLds_half_op_CI_CI_unitstride_sbrr_R2C_dirReg
	.p2align	8
	.type	fft_rtc_fwd_len270_factors_10_3_3_3_wgs_108_tpt_27_halfLds_half_op_CI_CI_unitstride_sbrr_R2C_dirReg,@function
fft_rtc_fwd_len270_factors_10_3_3_3_wgs_108_tpt_27_halfLds_half_op_CI_CI_unitstride_sbrr_R2C_dirReg: ; @fft_rtc_fwd_len270_factors_10_3_3_3_wgs_108_tpt_27_halfLds_half_op_CI_CI_unitstride_sbrr_R2C_dirReg
; %bb.0:
	s_load_dwordx4 s[8:11], s[4:5], 0x58
	s_load_dwordx4 s[12:15], s[4:5], 0x0
	;; [unrolled: 1-line block ×3, first 2 shown]
	v_mul_u32_u24_e32 v1, 0x97c, v0
	v_lshrrev_b32_e32 v9, 16, v1
	v_mov_b32_e32 v5, 0
	s_waitcnt lgkmcnt(0)
	v_cmp_lt_u64_e64 s[0:1], s[14:15], 2
	v_mov_b32_e32 v11, 0
	v_lshl_add_u32 v7, s6, 2, v9
	v_mov_b32_e32 v8, v5
	s_and_b64 vcc, exec, s[0:1]
	v_mov_b32_e32 v12, 0
	s_cbranch_vccnz .LBB0_8
; %bb.1:
	s_load_dwordx2 s[0:1], s[4:5], 0x10
	s_add_u32 s2, s18, 8
	s_addc_u32 s3, s19, 0
	s_add_u32 s6, s16, 8
	s_addc_u32 s7, s17, 0
	v_mov_b32_e32 v11, 0
	s_waitcnt lgkmcnt(0)
	s_add_u32 s20, s0, 8
	v_mov_b32_e32 v12, 0
	v_mov_b32_e32 v1, v11
	s_addc_u32 s21, s1, 0
	s_mov_b64 s[22:23], 1
	v_mov_b32_e32 v2, v12
.LBB0_2:                                ; =>This Inner Loop Header: Depth=1
	s_load_dwordx2 s[24:25], s[20:21], 0x0
                                        ; implicit-def: $vgpr3_vgpr4
	s_waitcnt lgkmcnt(0)
	v_or_b32_e32 v6, s25, v8
	v_cmp_ne_u64_e32 vcc, 0, v[5:6]
	s_and_saveexec_b64 s[0:1], vcc
	s_xor_b64 s[26:27], exec, s[0:1]
	s_cbranch_execz .LBB0_4
; %bb.3:                                ;   in Loop: Header=BB0_2 Depth=1
	v_cvt_f32_u32_e32 v3, s24
	v_cvt_f32_u32_e32 v4, s25
	s_sub_u32 s0, 0, s24
	s_subb_u32 s1, 0, s25
	v_mac_f32_e32 v3, 0x4f800000, v4
	v_rcp_f32_e32 v3, v3
	v_mul_f32_e32 v3, 0x5f7ffffc, v3
	v_mul_f32_e32 v4, 0x2f800000, v3
	v_trunc_f32_e32 v4, v4
	v_mac_f32_e32 v3, 0xcf800000, v4
	v_cvt_u32_f32_e32 v4, v4
	v_cvt_u32_f32_e32 v3, v3
	v_mul_lo_u32 v6, s0, v4
	v_mul_hi_u32 v10, s0, v3
	v_mul_lo_u32 v14, s1, v3
	v_mul_lo_u32 v13, s0, v3
	v_add_u32_e32 v6, v10, v6
	v_add_u32_e32 v6, v6, v14
	v_mul_hi_u32 v10, v3, v13
	v_mul_lo_u32 v14, v3, v6
	v_mul_hi_u32 v16, v3, v6
	v_mul_hi_u32 v15, v4, v13
	v_mul_lo_u32 v13, v4, v13
	v_mul_hi_u32 v17, v4, v6
	v_add_co_u32_e32 v10, vcc, v10, v14
	v_addc_co_u32_e32 v14, vcc, 0, v16, vcc
	v_mul_lo_u32 v6, v4, v6
	v_add_co_u32_e32 v10, vcc, v10, v13
	v_addc_co_u32_e32 v10, vcc, v14, v15, vcc
	v_addc_co_u32_e32 v13, vcc, 0, v17, vcc
	v_add_co_u32_e32 v6, vcc, v10, v6
	v_addc_co_u32_e32 v10, vcc, 0, v13, vcc
	v_add_co_u32_e32 v3, vcc, v3, v6
	v_addc_co_u32_e32 v4, vcc, v4, v10, vcc
	v_mul_lo_u32 v6, s0, v4
	v_mul_hi_u32 v10, s0, v3
	v_mul_lo_u32 v13, s1, v3
	v_mul_lo_u32 v14, s0, v3
	v_add_u32_e32 v6, v10, v6
	v_add_u32_e32 v6, v6, v13
	v_mul_lo_u32 v15, v3, v6
	v_mul_hi_u32 v16, v3, v14
	v_mul_hi_u32 v17, v3, v6
	;; [unrolled: 1-line block ×3, first 2 shown]
	v_mul_lo_u32 v14, v4, v14
	v_mul_hi_u32 v10, v4, v6
	v_add_co_u32_e32 v15, vcc, v16, v15
	v_addc_co_u32_e32 v16, vcc, 0, v17, vcc
	v_mul_lo_u32 v6, v4, v6
	v_add_co_u32_e32 v14, vcc, v15, v14
	v_addc_co_u32_e32 v13, vcc, v16, v13, vcc
	v_addc_co_u32_e32 v10, vcc, 0, v10, vcc
	v_add_co_u32_e32 v6, vcc, v13, v6
	v_addc_co_u32_e32 v10, vcc, 0, v10, vcc
	v_add_co_u32_e32 v6, vcc, v3, v6
	v_addc_co_u32_e32 v10, vcc, v4, v10, vcc
	v_mad_u64_u32 v[3:4], s[0:1], v7, v10, 0
	v_mul_hi_u32 v13, v7, v6
	v_add_co_u32_e32 v15, vcc, v13, v3
	v_addc_co_u32_e32 v16, vcc, 0, v4, vcc
	v_mad_u64_u32 v[3:4], s[0:1], v8, v6, 0
	v_mad_u64_u32 v[13:14], s[0:1], v8, v10, 0
	v_add_co_u32_e32 v3, vcc, v15, v3
	v_addc_co_u32_e32 v3, vcc, v16, v4, vcc
	v_addc_co_u32_e32 v4, vcc, 0, v14, vcc
	v_add_co_u32_e32 v6, vcc, v3, v13
	v_addc_co_u32_e32 v10, vcc, 0, v4, vcc
	v_mul_lo_u32 v13, s25, v6
	v_mul_lo_u32 v14, s24, v10
	v_mad_u64_u32 v[3:4], s[0:1], s24, v6, 0
	v_add3_u32 v4, v4, v14, v13
	v_sub_u32_e32 v13, v8, v4
	v_mov_b32_e32 v14, s25
	v_sub_co_u32_e32 v3, vcc, v7, v3
	v_subb_co_u32_e64 v13, s[0:1], v13, v14, vcc
	v_subrev_co_u32_e64 v14, s[0:1], s24, v3
	v_subbrev_co_u32_e64 v13, s[0:1], 0, v13, s[0:1]
	v_cmp_le_u32_e64 s[0:1], s25, v13
	v_cndmask_b32_e64 v15, 0, -1, s[0:1]
	v_cmp_le_u32_e64 s[0:1], s24, v14
	v_cndmask_b32_e64 v14, 0, -1, s[0:1]
	v_cmp_eq_u32_e64 s[0:1], s25, v13
	v_cndmask_b32_e64 v13, v15, v14, s[0:1]
	v_add_co_u32_e64 v14, s[0:1], 2, v6
	v_addc_co_u32_e64 v15, s[0:1], 0, v10, s[0:1]
	v_add_co_u32_e64 v16, s[0:1], 1, v6
	v_addc_co_u32_e64 v17, s[0:1], 0, v10, s[0:1]
	v_subb_co_u32_e32 v4, vcc, v8, v4, vcc
	v_cmp_ne_u32_e64 s[0:1], 0, v13
	v_cmp_le_u32_e32 vcc, s25, v4
	v_cndmask_b32_e64 v13, v17, v15, s[0:1]
	v_cndmask_b32_e64 v15, 0, -1, vcc
	v_cmp_le_u32_e32 vcc, s24, v3
	v_cndmask_b32_e64 v3, 0, -1, vcc
	v_cmp_eq_u32_e32 vcc, s25, v4
	v_cndmask_b32_e32 v3, v15, v3, vcc
	v_cmp_ne_u32_e32 vcc, 0, v3
	v_cndmask_b32_e64 v3, v16, v14, s[0:1]
	v_cndmask_b32_e32 v4, v10, v13, vcc
	v_cndmask_b32_e32 v3, v6, v3, vcc
.LBB0_4:                                ;   in Loop: Header=BB0_2 Depth=1
	s_andn2_saveexec_b64 s[0:1], s[26:27]
	s_cbranch_execz .LBB0_6
; %bb.5:                                ;   in Loop: Header=BB0_2 Depth=1
	v_cvt_f32_u32_e32 v3, s24
	s_sub_i32 s26, 0, s24
	v_rcp_iflag_f32_e32 v3, v3
	v_mul_f32_e32 v3, 0x4f7ffffe, v3
	v_cvt_u32_f32_e32 v3, v3
	v_mul_lo_u32 v4, s26, v3
	v_mul_hi_u32 v4, v3, v4
	v_add_u32_e32 v3, v3, v4
	v_mul_hi_u32 v3, v7, v3
	v_mul_lo_u32 v4, v3, s24
	v_add_u32_e32 v6, 1, v3
	v_sub_u32_e32 v4, v7, v4
	v_subrev_u32_e32 v10, s24, v4
	v_cmp_le_u32_e32 vcc, s24, v4
	v_cndmask_b32_e32 v4, v4, v10, vcc
	v_cndmask_b32_e32 v3, v3, v6, vcc
	v_add_u32_e32 v6, 1, v3
	v_cmp_le_u32_e32 vcc, s24, v4
	v_cndmask_b32_e32 v3, v3, v6, vcc
	v_mov_b32_e32 v4, v5
.LBB0_6:                                ;   in Loop: Header=BB0_2 Depth=1
	s_or_b64 exec, exec, s[0:1]
	v_mul_lo_u32 v6, v4, s24
	v_mul_lo_u32 v10, v3, s25
	v_mad_u64_u32 v[13:14], s[0:1], v3, s24, 0
	s_load_dwordx2 s[0:1], s[6:7], 0x0
	s_load_dwordx2 s[24:25], s[2:3], 0x0
	v_add3_u32 v6, v14, v10, v6
	v_sub_co_u32_e32 v7, vcc, v7, v13
	v_subb_co_u32_e32 v6, vcc, v8, v6, vcc
	s_waitcnt lgkmcnt(0)
	v_mul_lo_u32 v8, s0, v6
	v_mul_lo_u32 v10, s1, v7
	v_mad_u64_u32 v[11:12], s[0:1], s0, v7, v[11:12]
	v_mul_lo_u32 v6, s24, v6
	v_mul_lo_u32 v13, s25, v7
	v_mad_u64_u32 v[1:2], s[0:1], s24, v7, v[1:2]
	s_add_u32 s22, s22, 1
	s_addc_u32 s23, s23, 0
	s_add_u32 s2, s2, 8
	v_add3_u32 v2, v13, v2, v6
	s_addc_u32 s3, s3, 0
	v_mov_b32_e32 v6, s14
	s_add_u32 s6, s6, 8
	v_mov_b32_e32 v7, s15
	s_addc_u32 s7, s7, 0
	v_cmp_ge_u64_e32 vcc, s[22:23], v[6:7]
	s_add_u32 s20, s20, 8
	v_add3_u32 v12, v10, v12, v8
	s_addc_u32 s21, s21, 0
	s_cbranch_vccnz .LBB0_9
; %bb.7:                                ;   in Loop: Header=BB0_2 Depth=1
	v_mov_b32_e32 v8, v4
	v_mov_b32_e32 v7, v3
	s_branch .LBB0_2
.LBB0_8:
	v_mov_b32_e32 v1, v11
	v_mov_b32_e32 v3, v7
	;; [unrolled: 1-line block ×4, first 2 shown]
.LBB0_9:
	s_load_dwordx2 s[0:1], s[4:5], 0x28
	s_lshl_b64 s[6:7], s[14:15], 3
	s_add_u32 s2, s18, s6
	s_addc_u32 s3, s19, s7
	v_and_b32_e32 v6, 3, v9
	s_waitcnt lgkmcnt(0)
	v_cmp_gt_u64_e32 vcc, s[0:1], v[3:4]
	v_cmp_le_u64_e64 s[0:1], s[0:1], v[3:4]
                                        ; implicit-def: $vgpr5
                                        ; implicit-def: $vgpr7
                                        ; implicit-def: $vgpr10
                                        ; implicit-def: $vgpr9
	s_and_saveexec_b64 s[4:5], s[0:1]
	s_xor_b64 s[0:1], exec, s[4:5]
; %bb.10:
	s_mov_b32 s4, 0x97b425f
	v_mul_hi_u32 v5, v0, s4
                                        ; implicit-def: $vgpr11_vgpr12
	v_mul_u32_u24_e32 v5, 27, v5
	v_sub_u32_e32 v5, v0, v5
	v_add_u32_e32 v7, 27, v5
	v_add_u32_e32 v10, 54, v5
	;; [unrolled: 1-line block ×3, first 2 shown]
                                        ; implicit-def: $vgpr0
; %bb.11:
	s_or_saveexec_b64 s[4:5], s[0:1]
	v_mul_u32_u24_e32 v6, 0x10f, v6
	v_lshlrev_b32_e32 v24, 2, v6
	s_xor_b64 exec, exec, s[4:5]
	s_cbranch_execz .LBB0_13
; %bb.12:
	s_add_u32 s0, s16, s6
	s_addc_u32 s1, s17, s7
	s_load_dwordx2 s[0:1], s[0:1], 0x0
	s_mov_b32 s6, 0x97b425f
	v_mul_hi_u32 v5, v0, s6
	s_waitcnt lgkmcnt(0)
	v_mul_lo_u32 v8, s1, v3
	v_mul_lo_u32 v9, s0, v4
	v_mad_u64_u32 v[6:7], s[0:1], s0, v3, 0
	v_mul_u32_u24_e32 v5, 27, v5
	v_sub_u32_e32 v5, v0, v5
	v_add3_u32 v7, v7, v9, v8
	v_lshlrev_b64 v[6:7], 2, v[6:7]
	v_mov_b32_e32 v0, s9
	v_add_co_u32_e64 v8, s[0:1], s8, v6
	v_addc_co_u32_e64 v0, s[0:1], v0, v7, s[0:1]
	v_lshlrev_b64 v[6:7], 2, v[11:12]
	v_add_u32_e32 v10, 54, v5
	v_add_co_u32_e64 v6, s[0:1], v8, v6
	v_addc_co_u32_e64 v0, s[0:1], v0, v7, s[0:1]
	v_lshlrev_b32_e32 v8, 2, v5
	v_add_co_u32_e64 v6, s[0:1], v6, v8
	v_addc_co_u32_e64 v7, s[0:1], 0, v0, s[0:1]
	global_load_dword v0, v[6:7], off
	global_load_dword v11, v[6:7], off offset:108
	global_load_dword v12, v[6:7], off offset:216
	global_load_dword v13, v[6:7], off offset:324
	global_load_dword v14, v[6:7], off offset:432
	global_load_dword v15, v[6:7], off offset:540
	global_load_dword v16, v[6:7], off offset:648
	global_load_dword v17, v[6:7], off offset:756
	global_load_dword v18, v[6:7], off offset:864
	global_load_dword v19, v[6:7], off offset:972
	v_add_u32_e32 v7, 27, v5
	v_add_u32_e32 v9, 0x51, v5
	v_add3_u32 v6, 0, v24, v8
	s_waitcnt vmcnt(8)
	ds_write2_b32 v6, v0, v11 offset1:27
	s_waitcnt vmcnt(6)
	ds_write2_b32 v6, v12, v13 offset0:54 offset1:81
	s_waitcnt vmcnt(4)
	ds_write2_b32 v6, v14, v15 offset0:108 offset1:135
	s_waitcnt vmcnt(2)
	ds_write2_b32 v6, v16, v17 offset0:162 offset1:189
	s_waitcnt vmcnt(0)
	ds_write2_b32 v6, v18, v19 offset0:216 offset1:243
.LBB0_13:
	s_or_b64 exec, exec, s[4:5]
	v_lshlrev_b32_e32 v6, 2, v5
	v_add_u32_e32 v0, 0, v24
	v_add3_u32 v8, 0, v6, v24
	s_load_dwordx2 s[4:5], s[2:3], 0x0
	s_waitcnt lgkmcnt(0)
	s_barrier
	ds_read2_b32 v[11:12], v8 offset0:27 offset1:54
	ds_read2_b32 v[13:14], v8 offset0:135 offset1:162
	;; [unrolled: 1-line block ×4, first 2 shown]
	v_add_u32_e32 v21, v0, v6
	ds_read_b32 v19, v21
	ds_read_b32 v20, v8 offset:972
	s_movk_i32 s0, 0x3b9c
	s_waitcnt lgkmcnt(3)
	v_sub_f16_sdwa v26, v16, v14 dst_sel:DWORD dst_unused:UNUSED_PAD src0_sel:WORD_1 src1_sel:WORD_1
	s_waitcnt lgkmcnt(2)
	v_sub_f16_sdwa v25, v12, v18 dst_sel:DWORD dst_unused:UNUSED_PAD src0_sel:WORD_1 src1_sel:WORD_1
	v_sub_f16_e32 v22, v16, v14
	v_sub_f16_e32 v23, v12, v18
	v_add_f16_e32 v25, v25, v26
	s_waitcnt lgkmcnt(0)
	v_sub_f16_e32 v26, v20, v15
	v_sub_f16_e32 v27, v17, v13
	v_add_f16_e32 v22, v23, v22
	v_pk_add_f16 v23, v19, v12
	v_add_f16_e32 v26, v27, v26
	v_pk_add_f16 v27, v11, v17
	v_pk_add_f16 v23, v23, v18
	;; [unrolled: 1-line block ×3, first 2 shown]
	v_add_f16_e32 v28, v18, v14
	v_sub_f16_sdwa v29, v18, v14 dst_sel:DWORD dst_unused:UNUSED_PAD src0_sel:WORD_1 src1_sel:WORD_1
	v_add_f16_sdwa v31, v18, v14 dst_sel:DWORD dst_unused:UNUSED_PAD src0_sel:WORD_1 src1_sel:WORD_1
	v_sub_f16_e32 v32, v18, v14
	v_sub_f16_e32 v39, v18, v12
	v_sub_f16_sdwa v18, v18, v12 dst_sel:DWORD dst_unused:UNUSED_PAD src0_sel:WORD_1 src1_sel:WORD_1
	v_sub_f16_sdwa v43, v12, v16 dst_sel:DWORD dst_unused:UNUSED_PAD src0_sel:WORD_1 src1_sel:WORD_1
	v_add_f16_e32 v44, v12, v16
	v_sub_f16_e32 v45, v12, v16
	v_add_f16_sdwa v12, v12, v16 dst_sel:DWORD dst_unused:UNUSED_PAD src0_sel:WORD_1 src1_sel:WORD_1
	v_lshrrev_b32_e32 v48, 16, v19
	v_pk_add_f16 v23, v23, v14
	v_sub_f16_e32 v30, v14, v16
	v_sub_f16_sdwa v14, v14, v16 dst_sel:DWORD dst_unused:UNUSED_PAD src0_sel:WORD_1 src1_sel:WORD_1
	v_add_f16_e32 v33, v13, v15
	v_add_f16_e32 v41, v17, v20
	v_pk_add_f16 v27, v27, v15
	s_mov_b32 s3, 0xbb9c
	v_fma_f16 v12, v12, -0.5, v48
	v_sub_f16_sdwa v34, v13, v15 dst_sel:DWORD dst_unused:UNUSED_PAD src0_sel:WORD_1 src1_sel:WORD_1
	v_sub_f16_e32 v35, v13, v17
	v_add_f16_sdwa v36, v13, v15 dst_sel:DWORD dst_unused:UNUSED_PAD src0_sel:WORD_1 src1_sel:WORD_1
	v_sub_f16_e32 v37, v13, v15
	v_sub_f16_sdwa v38, v17, v13 dst_sel:DWORD dst_unused:UNUSED_PAD src0_sel:WORD_1 src1_sel:WORD_1
	v_sub_f16_sdwa v13, v13, v17 dst_sel:DWORD dst_unused:UNUSED_PAD src0_sel:WORD_1 src1_sel:WORD_1
	;; [unrolled: 1-line block ×3, first 2 shown]
	v_sub_f16_e32 v42, v17, v20
	v_add_f16_sdwa v17, v17, v20 dst_sel:DWORD dst_unused:UNUSED_PAD src0_sel:WORD_1 src1_sel:WORD_1
	v_pk_add_f16 v23, v23, v16
	v_sub_f16_e32 v16, v15, v20
	v_sub_f16_sdwa v46, v20, v15 dst_sel:DWORD dst_unused:UNUSED_PAD src0_sel:WORD_1 src1_sel:WORD_1
	v_sub_f16_sdwa v15, v15, v20 dst_sel:DWORD dst_unused:UNUSED_PAD src0_sel:WORD_1 src1_sel:WORD_1
	v_pk_add_f16 v27, v27, v20
	v_fma_f16 v20, v33, -0.5, v11
	v_fma_f16 v33, v41, -0.5, v11
	v_lshrrev_b32_e32 v11, 16, v11
	s_movk_i32 s1, 0x38b4
	s_mov_b32 s6, 0xb8b4
	v_add_f16_e32 v14, v18, v14
	v_fma_f16 v18, v32, s0, v12
	v_fma_f16 v12, v32, s3, v12
	s_movk_i32 s2, 0x34f2
	v_fma_f16 v41, v40, s0, v20
	v_fma_f16 v36, v36, -0.5, v11
	v_fma_f16 v18, v45, s6, v18
	v_fma_f16 v12, v45, s1, v12
	v_add_f16_e32 v38, v38, v46
	v_fma_f16 v41, v34, s1, v41
	v_fma_f16 v46, v42, s3, v36
	;; [unrolled: 1-line block ×9, first 2 shown]
	v_fma_f16 v11, v17, -0.5, v11
	v_fma_f16 v46, v38, s2, v46
	s_movk_i32 s7, 0x3a79
	v_mul_f16_e32 v47, 0x3a79, v41
	v_mul_f16_e32 v41, 0xb8b4, v41
	v_fma_f16 v28, v28, -0.5, v19
	v_fma_f16 v14, v26, s2, v14
	v_add_f16_e32 v16, v35, v16
	v_fma_f16 v26, v34, s0, v33
	v_fma_f16 v20, v40, s1, v20
	v_add_f16_e32 v13, v13, v15
	v_fma_f16 v15, v37, s0, v11
	v_fma_f16 v47, v46, s1, v47
	;; [unrolled: 1-line block ×11, first 2 shown]
	v_fma_f16 v19, v44, -0.5, v19
	v_fma_f16 v16, v16, s2, v26
	v_fma_f16 v11, v42, s1, v11
	;; [unrolled: 1-line block ×3, first 2 shown]
	v_mul_f16_e32 v17, 0xbb9c, v20
	v_fma_f16 v46, v22, s2, v46
	v_fma_f16 v31, v31, -0.5, v48
	v_fma_f16 v22, v22, s2, v28
	v_add_f16_e32 v28, v39, v30
	v_fma_f16 v30, v29, s3, v19
	v_fma_f16 v19, v29, s0, v19
	v_fma_f16 v26, v42, s0, v36
	v_fma_f16 v11, v13, s2, v11
	v_mul_f16_e32 v13, 0x3b9c, v15
	v_fma_f16 v15, v15, s2, v17
	v_mul_f16_e32 v17, 0x34f2, v16
	v_fma_f16 v49, v45, s3, v31
	v_fma_f16 v29, v43, s1, v30
	;; [unrolled: 1-line block ×4, first 2 shown]
	v_fma_f16 v17, v11, s0, -v17
	v_mul_f16_e32 v11, 0x34f2, v11
	v_fma_f16 v49, v32, s6, v49
	v_fma_f16 v29, v28, s2, v29
	;; [unrolled: 1-line block ×5, first 2 shown]
	v_fma_f16 v11, v16, s3, -v11
	v_mul_f16_e32 v16, 0x3a79, v14
	v_fma_f16 v49, v25, s2, v49
	v_fma_f16 v28, v32, s1, v28
	;; [unrolled: 1-line block ×3, first 2 shown]
	v_fma_f16 v16, v26, s1, -v16
	v_mul_f16_e32 v20, 0x3a79, v26
	v_add_f16_e32 v50, v46, v47
	v_add_f16_e32 v51, v49, v41
	v_fma_f16 v25, v25, s2, v28
	v_fma_f16 v14, v14, s6, -v20
	v_add_f16_e32 v28, v29, v13
	v_sub_f16_e32 v13, v29, v13
	v_add_f16_e32 v29, v19, v17
	v_sub_f16_e32 v17, v19, v17
	;; [unrolled: 2-line block ×4, first 2 shown]
	v_add_f16_e32 v18, v12, v11
	v_pack_b32_f16 v50, v50, v51
	v_mad_u32_u24 v51, v5, 36, v8
	v_sub_f16_e32 v11, v12, v11
	v_add_f16_e32 v12, v25, v14
	v_sub_f16_e32 v20, v25, v14
	v_pack_b32_f16 v14, v29, v18
	v_pack_b32_f16 v18, v28, v22
	s_barrier
	v_sub_f16_e32 v26, v46, v47
	v_sub_f16_e32 v16, v49, v41
	ds_write2_b32 v51, v18, v14 offset0:2 offset1:3
	v_pk_add_f16 v14, v23, v27 neg_lo:[0,1] neg_hi:[0,1]
	v_pack_b32_f16 v12, v30, v12
	ds_write2_b32 v51, v12, v14 offset0:4 offset1:5
	v_pack_b32_f16 v12, v26, v16
	v_pack_b32_f16 v13, v13, v15
	v_pk_add_f16 v52, v23, v27
	ds_write2_b32 v51, v12, v13 offset0:6 offset1:7
	v_pack_b32_f16 v12, v19, v20
	v_pack_b32_f16 v11, v17, v11
	ds_write2_b32 v51, v52, v50 offset1:1
	ds_write2_b32 v51, v11, v12 offset0:8 offset1:9
	s_waitcnt lgkmcnt(0)
	s_barrier
	ds_read2_b32 v[17:18], v8 offset0:90 offset1:117
	ds_read2_b32 v[13:14], v8 offset0:144 offset1:180
	v_lshl_add_u32 v23, v7, 2, v0
	ds_read2_b32 v[15:16], v8 offset0:207 offset1:234
	v_lshl_add_u32 v22, v10, 2, v0
	ds_read_b32 v28, v21
	ds_read_b32 v27, v23
	ds_read_b32 v26, v22
	v_cmp_gt_u32_e64 s[0:1], 9, v5
	v_lshlrev_b32_e32 v25, 2, v9
                                        ; implicit-def: $vgpr29
                                        ; implicit-def: $vgpr30
                                        ; implicit-def: $vgpr12
	s_and_saveexec_b64 s[2:3], s[0:1]
	s_cbranch_execz .LBB0_15
; %bb.14:
	v_add3_u32 v11, 0, v25, v24
	ds_read_b32 v19, v11
	v_add_u32_e32 v11, 0x200, v8
	ds_read2_b32 v[11:12], v11 offset0:43 offset1:133
	s_waitcnt lgkmcnt(1)
	v_lshrrev_b32_e32 v20, 16, v19
	s_waitcnt lgkmcnt(0)
	v_lshrrev_b32_e32 v29, 16, v12
	v_lshrrev_b32_e32 v30, 16, v11
.LBB0_15:
	s_or_b64 exec, exec, s[2:3]
	s_movk_i32 s2, 0xcd
	v_mul_lo_u16_sdwa v31, v5, s2 dst_sel:DWORD dst_unused:UNUSED_PAD src0_sel:BYTE_0 src1_sel:DWORD
	v_lshrrev_b16_e32 v42, 11, v31
	v_mul_lo_u16_e32 v31, 10, v42
	v_sub_u16_e32 v43, v5, v31
	v_mov_b32_e32 v44, 3
	v_lshlrev_b32_sdwa v31, v44, v43 dst_sel:DWORD dst_unused:UNUSED_PAD src0_sel:DWORD src1_sel:BYTE_0
	global_load_dwordx2 v[31:32], v31, s[12:13]
	s_waitcnt lgkmcnt(5)
	v_lshrrev_b32_e32 v36, 16, v17
	s_waitcnt lgkmcnt(4)
	v_lshrrev_b32_e32 v37, 16, v14
	v_lshrrev_b32_e32 v38, 16, v18
	s_waitcnt lgkmcnt(3)
	v_lshrrev_b32_e32 v39, 16, v15
	v_lshrrev_b32_e32 v40, 16, v13
	;; [unrolled: 1-line block ×3, first 2 shown]
	s_waitcnt lgkmcnt(2)
	v_lshrrev_b32_e32 v33, 16, v28
	s_mov_b32 s3, 0xbaee
	s_waitcnt lgkmcnt(1)
	v_lshrrev_b32_e32 v34, 16, v27
	s_waitcnt lgkmcnt(0)
	v_lshrrev_b32_e32 v35, 16, v26
	s_waitcnt vmcnt(0)
	v_mul_f16_sdwa v45, v31, v36 dst_sel:DWORD dst_unused:UNUSED_PAD src0_sel:WORD_1 src1_sel:DWORD
	v_fma_f16 v45, v31, v17, -v45
	v_mul_f16_sdwa v17, v31, v17 dst_sel:DWORD dst_unused:UNUSED_PAD src0_sel:WORD_1 src1_sel:DWORD
	v_fma_f16 v17, v31, v36, v17
	v_mul_f16_sdwa v31, v32, v37 dst_sel:DWORD dst_unused:UNUSED_PAD src0_sel:WORD_1 src1_sel:DWORD
	v_fma_f16 v36, v32, v14, -v31
	v_mul_f16_sdwa v14, v32, v14 dst_sel:DWORD dst_unused:UNUSED_PAD src0_sel:WORD_1 src1_sel:DWORD
	v_fma_f16 v37, v32, v37, v14
	v_mul_lo_u16_sdwa v14, v7, s2 dst_sel:DWORD dst_unused:UNUSED_PAD src0_sel:BYTE_0 src1_sel:DWORD
	v_lshrrev_b16_e32 v46, 11, v14
	v_mul_lo_u16_e32 v14, 10, v46
	v_sub_u16_e32 v47, v7, v14
	v_lshlrev_b32_sdwa v14, v44, v47 dst_sel:DWORD dst_unused:UNUSED_PAD src0_sel:DWORD src1_sel:BYTE_0
	global_load_dwordx2 v[31:32], v14, s[12:13]
	s_waitcnt vmcnt(0)
	v_mul_f16_sdwa v14, v31, v38 dst_sel:DWORD dst_unused:UNUSED_PAD src0_sel:WORD_1 src1_sel:DWORD
	v_fma_f16 v48, v31, v18, -v14
	v_mul_f16_sdwa v14, v31, v18 dst_sel:DWORD dst_unused:UNUSED_PAD src0_sel:WORD_1 src1_sel:DWORD
	v_fma_f16 v18, v31, v38, v14
	v_mul_f16_sdwa v14, v32, v39 dst_sel:DWORD dst_unused:UNUSED_PAD src0_sel:WORD_1 src1_sel:DWORD
	v_fma_f16 v31, v32, v15, -v14
	v_mul_f16_sdwa v14, v32, v15 dst_sel:DWORD dst_unused:UNUSED_PAD src0_sel:WORD_1 src1_sel:DWORD
	v_fma_f16 v32, v32, v39, v14
	v_mul_lo_u16_sdwa v14, v10, s2 dst_sel:DWORD dst_unused:UNUSED_PAD src0_sel:BYTE_0 src1_sel:DWORD
	v_lshrrev_b16_e32 v38, 11, v14
	v_mul_lo_u16_e32 v14, 10, v38
	v_sub_u16_e32 v39, v10, v14
	v_lshlrev_b32_sdwa v14, v44, v39 dst_sel:DWORD dst_unused:UNUSED_PAD src0_sel:DWORD src1_sel:BYTE_0
	global_load_dwordx2 v[14:15], v14, s[12:13]
	;; [unrolled: 15-line block ×3, first 2 shown]
	s_movk_i32 s2, 0x3aee
	s_waitcnt vmcnt(0)
	s_barrier
	v_mul_f16_sdwa v41, v30, v13 dst_sel:DWORD dst_unused:UNUSED_PAD src0_sel:DWORD src1_sel:WORD_1
	v_fma_f16 v41, v11, v13, -v41
	v_mul_f16_sdwa v11, v11, v13 dst_sel:DWORD dst_unused:UNUSED_PAD src0_sel:DWORD src1_sel:WORD_1
	v_fma_f16 v11, v30, v13, v11
	v_mul_f16_sdwa v13, v29, v14 dst_sel:DWORD dst_unused:UNUSED_PAD src0_sel:DWORD src1_sel:WORD_1
	v_fma_f16 v30, v12, v14, -v13
	v_mul_f16_sdwa v12, v12, v14 dst_sel:DWORD dst_unused:UNUSED_PAD src0_sel:DWORD src1_sel:WORD_1
	v_add_f16_e32 v13, v28, v45
	v_fma_f16 v12, v29, v14, v12
	v_add_f16_e32 v29, v13, v36
	v_add_f16_e32 v13, v45, v36
	v_fma_f16 v13, v13, -0.5, v28
	v_sub_f16_e32 v14, v17, v37
	v_fma_f16 v28, v14, s2, v13
	v_fma_f16 v44, v14, s3, v13
	v_add_f16_e32 v13, v33, v17
	v_add_f16_e32 v51, v13, v37
	v_add_f16_e32 v13, v17, v37
	v_fma_f16 v13, v13, -0.5, v33
	v_sub_f16_e32 v14, v45, v36
	v_fma_f16 v17, v14, s3, v13
	v_fma_f16 v33, v14, s2, v13
	v_add_f16_e32 v13, v27, v48
	;; [unrolled: 7-line block ×7, first 2 shown]
	v_add_f16_e32 v11, v11, v12
	v_add_f16_e32 v27, v19, v12
	v_fma_f16 v11, v11, -0.5, v20
	v_sub_f16_e32 v12, v41, v30
	v_fma_f16 v31, v12, s3, v11
	v_fma_f16 v30, v12, s2, v11
	s_movk_i32 s2, 0x78
	v_mov_b32_e32 v11, 2
	v_mad_u32_u24 v12, v42, s2, 0
	v_lshlrev_b32_sdwa v19, v11, v43 dst_sel:DWORD dst_unused:UNUSED_PAD src0_sel:DWORD src1_sel:BYTE_0
	v_add3_u32 v12, v12, v19, v24
	v_pack_b32_f16 v19, v29, v51
	v_pack_b32_f16 v17, v28, v17
	ds_write2_b32 v12, v19, v17 offset1:10
	v_pack_b32_f16 v17, v44, v33
	ds_write_b32 v12, v17 offset:80
	v_mad_u32_u24 v12, v46, s2, 0
	v_lshlrev_b32_sdwa v17, v11, v47 dst_sel:DWORD dst_unused:UNUSED_PAD src0_sel:DWORD src1_sel:BYTE_0
	v_add3_u32 v12, v12, v17, v24
	v_pack_b32_f16 v17, v36, v52
	v_pack_b32_f16 v18, v37, v18
	ds_write2_b32 v12, v17, v18 offset1:10
	v_pack_b32_f16 v17, v45, v32
	ds_write_b32 v12, v17 offset:80
	;; [unrolled: 8-line block ×3, first 2 shown]
	s_and_saveexec_b64 s[2:3], s[0:1]
	s_cbranch_execz .LBB0_17
; %bb.16:
	v_lshlrev_b32_sdwa v11, v11, v15 dst_sel:DWORD dst_unused:UNUSED_PAD src0_sel:DWORD src1_sel:BYTE_0
	s_mov_b32 s6, 0x5040100
	v_add3_u32 v11, 0, v11, v24
	v_perm_b32 v12, v27, v26, s6
	v_perm_b32 v15, v31, v13, s6
	ds_write2_b32 v11, v12, v15 offset0:240 offset1:250
	v_perm_b32 v12, v30, v14, s6
	ds_write_b32 v11, v12 offset:1040
.LBB0_17:
	s_or_b64 exec, exec, s[2:3]
	s_waitcnt lgkmcnt(0)
	s_barrier
	ds_read2_b32 v[19:20], v8 offset0:90 offset1:117
	ds_read2_b32 v[15:16], v8 offset0:144 offset1:180
	;; [unrolled: 1-line block ×3, first 2 shown]
	ds_read_b32 v32, v21
	ds_read_b32 v29, v23
	;; [unrolled: 1-line block ×3, first 2 shown]
	s_and_saveexec_b64 s[2:3], s[0:1]
	s_cbranch_execz .LBB0_19
; %bb.18:
	v_add3_u32 v11, 0, v25, v24
	ds_read_b32 v26, v11
	v_add_u32_e32 v11, 0x200, v8
	ds_read2_b32 v[13:14], v11 offset0:43 offset1:133
	s_waitcnt lgkmcnt(1)
	v_lshrrev_b32_e32 v27, 16, v26
	s_waitcnt lgkmcnt(0)
	v_lshrrev_b32_e32 v30, 16, v14
	v_lshrrev_b32_e32 v31, 16, v13
.LBB0_19:
	s_or_b64 exec, exec, s[2:3]
	v_lshlrev_b32_e32 v33, 1, v5
	v_mov_b32_e32 v34, 0
	v_lshlrev_b64 v[11:12], 2, v[33:34]
	v_mov_b32_e32 v46, s13
	v_add_co_u32_e64 v11, s[2:3], s12, v11
	v_addc_co_u32_e64 v12, s[2:3], v46, v12, s[2:3]
	global_load_dwordx2 v[35:36], v[11:12], off offset:80
	s_waitcnt lgkmcnt(5)
	v_lshrrev_b32_e32 v40, 16, v19
	s_waitcnt lgkmcnt(4)
	v_lshrrev_b32_e32 v41, 16, v16
	v_cmp_gt_u32_e64 s[2:3], 3, v5
	v_lshrrev_b32_e32 v42, 16, v20
	s_waitcnt lgkmcnt(3)
	v_lshrrev_b32_e32 v43, 16, v17
	v_lshrrev_b32_e32 v44, 16, v15
	;; [unrolled: 1-line block ×3, first 2 shown]
	s_waitcnt lgkmcnt(2)
	v_lshrrev_b32_e32 v37, 16, v32
	s_waitcnt lgkmcnt(1)
	v_lshrrev_b32_e32 v38, 16, v29
	s_waitcnt lgkmcnt(0)
	v_lshrrev_b32_e32 v39, 16, v28
	s_movk_i32 s6, 0x168
	s_waitcnt vmcnt(0)
	v_mul_f16_sdwa v33, v35, v40 dst_sel:DWORD dst_unused:UNUSED_PAD src0_sel:WORD_1 src1_sel:DWORD
	v_fma_f16 v47, v35, v19, -v33
	v_mul_f16_sdwa v19, v35, v19 dst_sel:DWORD dst_unused:UNUSED_PAD src0_sel:WORD_1 src1_sel:DWORD
	v_mul_f16_sdwa v33, v36, v41 dst_sel:DWORD dst_unused:UNUSED_PAD src0_sel:WORD_1 src1_sel:DWORD
	v_fma_f16 v19, v35, v40, v19
	v_fma_f16 v35, v36, v16, -v33
	v_mul_f16_sdwa v16, v36, v16 dst_sel:DWORD dst_unused:UNUSED_PAD src0_sel:WORD_1 src1_sel:DWORD
	v_fma_f16 v36, v36, v41, v16
	v_add_u32_e32 v16, -3, v5
	v_cndmask_b32_e64 v40, v16, v7, s[2:3]
	v_lshlrev_b32_e32 v33, 1, v40
	v_lshlrev_b64 v[33:34], 2, v[33:34]
	v_add_co_u32_e64 v33, s[2:3], s12, v33
	v_addc_co_u32_e64 v34, s[2:3], v46, v34, s[2:3]
	global_load_dwordx2 v[33:34], v[33:34], off offset:80
	s_movk_i32 s2, 0x89
	v_mov_b32_e32 v46, 3
	s_mov_b32 s3, 0xbaee
	s_waitcnt vmcnt(0)
	v_mul_f16_sdwa v16, v33, v42 dst_sel:DWORD dst_unused:UNUSED_PAD src0_sel:WORD_1 src1_sel:DWORD
	v_fma_f16 v41, v33, v20, -v16
	v_mul_f16_sdwa v16, v33, v20 dst_sel:DWORD dst_unused:UNUSED_PAD src0_sel:WORD_1 src1_sel:DWORD
	v_fma_f16 v20, v33, v42, v16
	v_mul_f16_sdwa v16, v34, v43 dst_sel:DWORD dst_unused:UNUSED_PAD src0_sel:WORD_1 src1_sel:DWORD
	v_fma_f16 v33, v34, v17, -v16
	v_mul_f16_sdwa v16, v34, v17 dst_sel:DWORD dst_unused:UNUSED_PAD src0_sel:WORD_1 src1_sel:DWORD
	v_fma_f16 v34, v34, v43, v16
	v_mul_lo_u16_sdwa v16, v10, s2 dst_sel:DWORD dst_unused:UNUSED_PAD src0_sel:BYTE_0 src1_sel:DWORD
	v_lshrrev_b16_e32 v42, 12, v16
	v_mul_lo_u16_e32 v16, 30, v42
	v_sub_u16_e32 v43, v10, v16
	v_lshlrev_b32_sdwa v16, v46, v43 dst_sel:DWORD dst_unused:UNUSED_PAD src0_sel:DWORD src1_sel:BYTE_0
	global_load_dwordx2 v[16:17], v16, s[12:13] offset:80
	s_waitcnt vmcnt(0)
	v_mul_f16_sdwa v48, v16, v44 dst_sel:DWORD dst_unused:UNUSED_PAD src0_sel:WORD_1 src1_sel:DWORD
	v_fma_f16 v48, v16, v15, -v48
	v_mul_f16_sdwa v15, v16, v15 dst_sel:DWORD dst_unused:UNUSED_PAD src0_sel:WORD_1 src1_sel:DWORD
	v_fma_f16 v44, v16, v44, v15
	v_mul_f16_sdwa v15, v17, v45 dst_sel:DWORD dst_unused:UNUSED_PAD src0_sel:WORD_1 src1_sel:DWORD
	v_fma_f16 v49, v17, v18, -v15
	v_mul_f16_sdwa v15, v17, v18 dst_sel:DWORD dst_unused:UNUSED_PAD src0_sel:WORD_1 src1_sel:DWORD
	v_fma_f16 v18, v17, v45, v15
	v_mul_lo_u16_sdwa v15, v9, s2 dst_sel:DWORD dst_unused:UNUSED_PAD src0_sel:BYTE_0 src1_sel:DWORD
	v_lshrrev_b16_e32 v15, 12, v15
	v_mul_lo_u16_e32 v15, 30, v15
	v_sub_u16_e32 v15, v9, v15
	v_lshlrev_b32_sdwa v16, v46, v15 dst_sel:DWORD dst_unused:UNUSED_PAD src0_sel:DWORD src1_sel:BYTE_0
	global_load_dwordx2 v[16:17], v16, s[12:13] offset:80
	s_movk_i32 s2, 0x3aee
	s_waitcnt vmcnt(0)
	s_barrier
	v_mul_f16_sdwa v45, v31, v16 dst_sel:DWORD dst_unused:UNUSED_PAD src0_sel:DWORD src1_sel:WORD_1
	v_fma_f16 v45, v13, v16, -v45
	v_mul_f16_sdwa v13, v13, v16 dst_sel:DWORD dst_unused:UNUSED_PAD src0_sel:DWORD src1_sel:WORD_1
	v_fma_f16 v16, v31, v16, v13
	v_mul_f16_sdwa v13, v30, v17 dst_sel:DWORD dst_unused:UNUSED_PAD src0_sel:DWORD src1_sel:WORD_1
	v_fma_f16 v31, v14, v17, -v13
	v_mul_f16_sdwa v13, v14, v17 dst_sel:DWORD dst_unused:UNUSED_PAD src0_sel:DWORD src1_sel:WORD_1
	v_fma_f16 v17, v30, v17, v13
	v_add_f16_e32 v13, v32, v47
	v_add_f16_e32 v30, v13, v35
	v_add_f16_e32 v13, v47, v35
	v_fma_f16 v13, v13, -0.5, v32
	v_sub_f16_e32 v14, v19, v36
	v_fma_f16 v32, v14, s2, v13
	v_fma_f16 v46, v14, s3, v13
	v_add_f16_e32 v13, v37, v19
	v_add_f16_e32 v50, v13, v36
	v_add_f16_e32 v13, v19, v36
	v_fma_f16 v13, v13, -0.5, v37
	v_sub_f16_e32 v14, v47, v35
	v_fma_f16 v19, v14, s3, v13
	;; [unrolled: 7-line block ×8, first 2 shown]
	v_fma_f16 v27, v17, s2, v16
	v_pack_b32_f16 v16, v30, v50
	v_pack_b32_f16 v17, v32, v19
	ds_write2_b32 v8, v16, v17 offset1:30
	v_pack_b32_f16 v16, v46, v35
	ds_write_b32 v8, v16 offset:240
	v_cmp_lt_u32_e64 s[2:3], 2, v5
	v_mov_b32_e32 v16, 0x168
	v_cndmask_b32_e64 v16, 0, v16, s[2:3]
	v_add_u32_e32 v16, 0, v16
	v_lshlrev_b32_e32 v17, 2, v40
	v_add3_u32 v16, v16, v17, v24
	v_pack_b32_f16 v17, v36, v51
	v_pack_b32_f16 v19, v37, v20
	ds_write2_b32 v16, v17, v19 offset1:30
	v_pack_b32_f16 v17, v47, v33
	ds_write_b32 v16, v17 offset:240
	v_mov_b32_e32 v16, 2
	v_mad_u32_u24 v17, v42, s6, 0
	v_lshlrev_b32_sdwa v19, v16, v43 dst_sel:DWORD dst_unused:UNUSED_PAD src0_sel:DWORD src1_sel:BYTE_0
	v_add3_u32 v17, v17, v19, v24
	v_pack_b32_f16 v19, v34, v52
	v_pack_b32_f16 v18, v38, v18
	ds_write2_b32 v17, v19, v18 offset1:30
	v_pack_b32_f16 v18, v41, v39
	ds_write_b32 v17, v18 offset:240
	s_and_saveexec_b64 s[2:3], s[0:1]
	s_cbranch_execz .LBB0_21
; %bb.20:
	v_lshlrev_b32_sdwa v15, v16, v15 dst_sel:DWORD dst_unused:UNUSED_PAD src0_sel:DWORD src1_sel:BYTE_0
	s_mov_b32 s6, 0x5040100
	v_add3_u32 v15, 0, v15, v24
	v_perm_b32 v16, v26, v28, s6
	v_perm_b32 v17, v29, v13, s6
	ds_write2_b32 v15, v16, v17 offset0:180 offset1:210
	v_perm_b32 v16, v27, v14, s6
	ds_write_b32 v15, v16 offset:960
.LBB0_21:
	s_or_b64 exec, exec, s[2:3]
	s_waitcnt lgkmcnt(0)
	s_barrier
	ds_read2_b32 v[19:20], v8 offset0:90 offset1:117
	ds_read2_b32 v[15:16], v8 offset0:144 offset1:180
	;; [unrolled: 1-line block ×3, first 2 shown]
	ds_read_b32 v32, v21
	ds_read_b32 v31, v23
	;; [unrolled: 1-line block ×3, first 2 shown]
	s_and_saveexec_b64 s[2:3], s[0:1]
	s_cbranch_execz .LBB0_23
; %bb.22:
	v_add3_u32 v13, 0, v25, v24
	ds_read_b32 v28, v13
	v_add_u32_e32 v13, 0x200, v8
	ds_read2_b32 v[13:14], v13 offset0:43 offset1:133
	s_waitcnt lgkmcnt(1)
	v_lshrrev_b32_e32 v26, 16, v28
	s_waitcnt lgkmcnt(0)
	v_lshrrev_b32_e32 v27, 16, v14
	v_lshrrev_b32_e32 v29, 16, v13
.LBB0_23:
	s_or_b64 exec, exec, s[2:3]
	global_load_dwordx2 v[24:25], v[11:12], off offset:320
	v_lshlrev_b32_e32 v11, 1, v7
	v_mov_b32_e32 v12, 0
	v_lshlrev_b64 v[33:34], 2, v[11:12]
	v_lshlrev_b32_e32 v11, 1, v10
	v_mov_b32_e32 v37, s13
	v_add_co_u32_e64 v33, s[2:3], s12, v33
	v_lshlrev_b64 v[35:36], 2, v[11:12]
	v_addc_co_u32_e64 v34, s[2:3], v37, v34, s[2:3]
	v_add_co_u32_e64 v35, s[2:3], s12, v35
	global_load_dwordx2 v[33:34], v[33:34], off offset:320
	v_addc_co_u32_e64 v36, s[2:3], v37, v36, s[2:3]
	global_load_dwordx2 v[35:36], v[35:36], off offset:320
	s_waitcnt lgkmcnt(4)
	v_lshrrev_b32_e32 v43, 16, v16
	v_lshrrev_b32_e32 v44, 16, v19
	s_waitcnt lgkmcnt(2)
	v_lshrrev_b32_e32 v11, 16, v32
	v_lshrrev_b32_e32 v41, 16, v17
	;; [unrolled: 1-line block ×5, first 2 shown]
	s_movk_i32 s6, 0x3aee
	s_mov_b32 s7, 0xbaee
	s_waitcnt lgkmcnt(1)
	v_lshrrev_b32_e32 v37, 16, v31
	s_waitcnt lgkmcnt(0)
	v_lshrrev_b32_e32 v38, 16, v30
	s_waitcnt vmcnt(0)
	s_barrier
	v_mul_f16_sdwa v45, v24, v44 dst_sel:DWORD dst_unused:UNUSED_PAD src0_sel:WORD_1 src1_sel:DWORD
	v_mul_f16_sdwa v46, v24, v19 dst_sel:DWORD dst_unused:UNUSED_PAD src0_sel:WORD_1 src1_sel:DWORD
	;; [unrolled: 1-line block ×4, first 2 shown]
	v_fma_f16 v19, v24, v19, -v45
	v_fma_f16 v24, v24, v44, v46
	v_fma_f16 v16, v25, v16, -v47
	v_fma_f16 v25, v25, v43, v48
	v_add_f16_e32 v43, v32, v19
	v_add_f16_e32 v44, v19, v16
	v_sub_f16_e32 v45, v24, v25
	v_add_f16_e32 v46, v11, v24
	v_add_f16_e32 v24, v24, v25
	v_sub_f16_e32 v19, v19, v16
	v_add_f16_e32 v16, v43, v16
	v_fma_f16 v32, v44, -0.5, v32
	v_add_f16_e32 v25, v46, v25
	v_fma_f16 v11, v24, -0.5, v11
	v_mul_f16_sdwa v24, v33, v42 dst_sel:DWORD dst_unused:UNUSED_PAD src0_sel:WORD_1 src1_sel:DWORD
	v_mul_f16_sdwa v43, v33, v20 dst_sel:DWORD dst_unused:UNUSED_PAD src0_sel:WORD_1 src1_sel:DWORD
	;; [unrolled: 1-line block ×4, first 2 shown]
	v_fma_f16 v47, v45, s6, v32
	v_fma_f16 v32, v45, s7, v32
	;; [unrolled: 1-line block ×4, first 2 shown]
	v_fma_f16 v19, v33, v20, -v24
	v_fma_f16 v20, v33, v42, v43
	v_fma_f16 v17, v34, v17, -v44
	v_fma_f16 v24, v34, v41, v46
	v_mul_f16_sdwa v33, v35, v40 dst_sel:DWORD dst_unused:UNUSED_PAD src0_sel:WORD_1 src1_sel:DWORD
	v_mul_f16_sdwa v34, v35, v15 dst_sel:DWORD dst_unused:UNUSED_PAD src0_sel:WORD_1 src1_sel:DWORD
	;; [unrolled: 1-line block ×4, first 2 shown]
	v_fma_f16 v15, v35, v15, -v33
	v_fma_f16 v33, v35, v40, v34
	v_fma_f16 v18, v36, v18, -v41
	v_fma_f16 v34, v36, v39, v42
	v_add_f16_e32 v36, v19, v17
	v_sub_f16_e32 v39, v20, v24
	v_add_f16_e32 v40, v37, v20
	v_add_f16_e32 v20, v20, v24
	;; [unrolled: 1-line block ×3, first 2 shown]
	v_sub_f16_e32 v19, v19, v17
	v_fma_f16 v31, v36, -0.5, v31
	v_fma_f16 v20, v20, -0.5, v37
	v_add_f16_e32 v17, v35, v17
	v_add_f16_e32 v24, v40, v24
	v_add_f16_e32 v36, v15, v18
	v_sub_f16_e32 v37, v33, v34
	v_add_f16_e32 v40, v38, v33
	v_add_f16_e32 v33, v33, v34
	v_fma_f16 v41, v39, s6, v31
	v_fma_f16 v31, v39, s7, v31
	;; [unrolled: 1-line block ×3, first 2 shown]
	v_pack_b32_f16 v16, v16, v25
	v_pack_b32_f16 v25, v47, v45
	;; [unrolled: 1-line block ×3, first 2 shown]
	v_add_f16_e32 v35, v30, v15
	v_fma_f16 v19, v19, s6, v20
	v_fma_f16 v30, v36, -0.5, v30
	v_fma_f16 v33, v33, -0.5, v38
	v_sub_f16_e32 v15, v15, v18
	ds_write2_b32 v8, v16, v25 offset1:90
	ds_write_b32 v8, v11 offset:720
	v_pack_b32_f16 v11, v17, v24
	v_pack_b32_f16 v16, v41, v39
	v_add_f16_e32 v20, v35, v18
	v_add_f16_e32 v34, v40, v34
	v_fma_f16 v35, v37, s6, v30
	v_fma_f16 v18, v15, s7, v33
	ds_write2_b32 v23, v11, v16 offset1:90
	v_pack_b32_f16 v11, v31, v19
	v_fma_f16 v30, v37, s7, v30
	v_fma_f16 v15, v15, s6, v33
	ds_write_b32 v23, v11 offset:720
	v_pack_b32_f16 v11, v20, v34
	v_pack_b32_f16 v16, v35, v18
	ds_write2_b32 v22, v11, v16 offset1:90
	v_pack_b32_f16 v11, v30, v15
	ds_write_b32 v22, v11 offset:720
	s_and_saveexec_b64 s[2:3], s[0:1]
	s_cbranch_execz .LBB0_25
; %bb.24:
	v_add_u32_e32 v11, -9, v5
	v_cndmask_b32_e64 v11, v11, v9, s[0:1]
	v_lshlrev_b32_e32 v11, 1, v11
	v_lshlrev_b64 v[11:12], 2, v[11:12]
	v_mov_b32_e32 v15, s13
	v_add_co_u32_e64 v11, s[0:1], s12, v11
	v_addc_co_u32_e64 v12, s[0:1], v15, v12, s[0:1]
	global_load_dwordx2 v[11:12], v[11:12], off offset:320
	s_waitcnt vmcnt(0)
	v_mul_f16_sdwa v15, v29, v11 dst_sel:DWORD dst_unused:UNUSED_PAD src0_sel:DWORD src1_sel:WORD_1
	v_mul_f16_sdwa v16, v27, v12 dst_sel:DWORD dst_unused:UNUSED_PAD src0_sel:DWORD src1_sel:WORD_1
	;; [unrolled: 1-line block ×4, first 2 shown]
	v_fma_f16 v13, v13, v11, -v15
	v_fma_f16 v14, v14, v12, -v16
	v_fma_f16 v11, v29, v11, v17
	v_fma_f16 v12, v27, v12, v18
	v_add_f16_e32 v16, v11, v12
	v_add_f16_e32 v17, v26, v11
	;; [unrolled: 1-line block ×3, first 2 shown]
	v_sub_f16_e32 v15, v13, v14
	v_sub_f16_e32 v11, v11, v12
	v_add_f16_e32 v13, v28, v13
	v_fma_f16 v16, v16, -0.5, v26
	v_add_f16_e32 v12, v17, v12
	v_fma_f16 v17, v18, -0.5, v28
	v_add_f16_e32 v13, v13, v14
	v_fma_f16 v14, v15, s6, v16
	v_fma_f16 v15, v15, s7, v16
	;; [unrolled: 1-line block ×4, first 2 shown]
	v_pack_b32_f16 v12, v13, v12
	v_pack_b32_f16 v11, v11, v15
	;; [unrolled: 1-line block ×3, first 2 shown]
	ds_write2_b32 v8, v12, v11 offset0:81 offset1:171
	ds_write_b32 v8, v13 offset:1044
.LBB0_25:
	s_or_b64 exec, exec, s[2:3]
	s_waitcnt lgkmcnt(0)
	s_barrier
	ds_read_b32 v8, v21
	v_sub_u32_e32 v14, v0, v6
	v_cmp_ne_u32_e64 s[0:1], 0, v5
                                        ; implicit-def: $vgpr16
                                        ; implicit-def: $vgpr15
                                        ; implicit-def: $vgpr12_vgpr13
	s_and_saveexec_b64 s[2:3], s[0:1]
	s_xor_b64 s[2:3], exec, s[2:3]
	s_cbranch_execz .LBB0_27
; %bb.26:
	v_mov_b32_e32 v6, 0
	v_lshlrev_b64 v[11:12], 2, v[5:6]
	v_mov_b32_e32 v13, s13
	v_add_co_u32_e64 v11, s[0:1], s12, v11
	v_addc_co_u32_e64 v12, s[0:1], v13, v12, s[0:1]
	global_load_dword v11, v[11:12], off offset:1040
	ds_read_b32 v12, v14 offset:1080
	s_waitcnt lgkmcnt(0)
	v_add_f16_sdwa v15, v12, v8 dst_sel:DWORD dst_unused:UNUSED_PAD src0_sel:WORD_1 src1_sel:WORD_1
	v_sub_f16_e32 v16, v8, v12
	v_add_f16_e32 v13, v12, v8
	v_sub_f16_sdwa v8, v8, v12 dst_sel:DWORD dst_unused:UNUSED_PAD src0_sel:WORD_1 src1_sel:WORD_1
	v_mul_f16_e32 v12, 0.5, v15
	v_mul_f16_e32 v15, 0.5, v16
	;; [unrolled: 1-line block ×3, first 2 shown]
	s_waitcnt vmcnt(0)
	v_lshrrev_b32_e32 v16, 16, v11
	v_mul_f16_e32 v17, v16, v15
	v_fma_f16 v18, v12, v16, v8
	v_fma_f16 v8, v12, v16, -v8
	v_fma_f16 v16, v13, 0.5, v17
	v_fma_f16 v13, v13, 0.5, -v17
	v_fma_f16 v18, -v11, v15, v18
	v_fma_f16 v8, -v11, v15, v8
	v_fma_f16 v15, v11, v12, v16
	v_fma_f16 v16, -v11, v12, v13
	v_mov_b32_e32 v13, v6
	ds_write_b16 v21, v18 offset:2
	ds_write_b16 v14, v8 offset:1082
	v_mov_b32_e32 v12, v5
                                        ; implicit-def: $vgpr8
.LBB0_27:
	s_andn2_saveexec_b64 s[0:1], s[2:3]
	s_cbranch_execz .LBB0_29
; %bb.28:
	v_mov_b32_e32 v6, 0
	ds_write_b16 v21, v6 offset:2
	ds_write_b16 v14, v6 offset:1082
	ds_read_u16 v6, v0 offset:542
	v_mov_b32_e32 v12, 0
	s_waitcnt lgkmcnt(3)
	v_add_f16_sdwa v15, v8, v8 dst_sel:DWORD dst_unused:UNUSED_PAD src0_sel:WORD_1 src1_sel:DWORD
	v_sub_f16_sdwa v16, v8, v8 dst_sel:DWORD dst_unused:UNUSED_PAD src0_sel:DWORD src1_sel:WORD_1
	v_mov_b32_e32 v13, 0
	s_waitcnt lgkmcnt(0)
	v_xor_b32_e32 v6, 0x8000, v6
	ds_write_b16 v0, v6 offset:542
.LBB0_29:
	s_or_b64 exec, exec, s[0:1]
	s_waitcnt lgkmcnt(0)
	v_mov_b32_e32 v8, 0
	v_lshlrev_b64 v[6:7], 2, v[7:8]
	v_mov_b32_e32 v11, s13
	v_add_co_u32_e64 v6, s[0:1], s12, v6
	v_addc_co_u32_e64 v7, s[0:1], v11, v7, s[0:1]
	global_load_dword v17, v[6:7], off offset:1040
	v_mov_b32_e32 v11, v8
	v_lshlrev_b64 v[6:7], 2, v[10:11]
	v_mov_b32_e32 v18, s13
	v_add_co_u32_e64 v6, s[0:1], s12, v6
	v_addc_co_u32_e64 v7, s[0:1], v18, v7, s[0:1]
	global_load_dword v11, v[6:7], off offset:1040
	v_mov_b32_e32 v10, v8
	v_lshlrev_b64 v[6:7], 2, v[9:10]
	v_lshl_add_u32 v9, v9, 2, v0
	v_add_co_u32_e64 v6, s[0:1], s12, v6
	v_addc_co_u32_e64 v7, s[0:1], v18, v7, s[0:1]
	global_load_dword v10, v[6:7], off offset:1040
	s_add_u32 s0, s12, 0x410
	v_lshlrev_b64 v[6:7], 2, v[12:13]
	s_addc_u32 s1, s13, 0
	ds_write_b16 v21, v15
	ds_write_b16 v14, v16 offset:1080
	v_mov_b32_e32 v15, s1
	v_add_co_u32_e64 v6, s[0:1], s0, v6
	v_addc_co_u32_e64 v7, s[0:1], v15, v7, s[0:1]
	ds_read_b32 v12, v23
	ds_read_b32 v13, v14 offset:972
	global_load_dword v6, v[6:7], off offset:432
	s_mov_b32 s0, 0xffff
	s_waitcnt lgkmcnt(0)
	v_pk_add_f16 v7, v12, v13 neg_lo:[0,1] neg_hi:[0,1]
	v_pk_add_f16 v12, v12, v13
	v_bfi_b32 v13, s0, v7, v12
	v_bfi_b32 v7, s0, v12, v7
	v_pk_mul_f16 v12, v13, 0.5 op_sel_hi:[1,0]
	v_pk_mul_f16 v7, v7, 0.5 op_sel_hi:[1,0]
	s_waitcnt vmcnt(3)
	v_pk_fma_f16 v13, v17, v12, v7 op_sel:[1,0,0]
	v_pk_mul_f16 v15, v17, v12 op_sel_hi:[0,1]
	v_pk_fma_f16 v16, v17, v12, v7 op_sel:[1,0,0] neg_lo:[1,0,0] neg_hi:[1,0,0]
	v_pk_fma_f16 v7, v17, v12, v7 op_sel:[1,0,0] neg_lo:[0,0,1] neg_hi:[0,0,1]
	v_pk_add_f16 v12, v13, v15 op_sel:[0,1] op_sel_hi:[1,0]
	v_pk_add_f16 v13, v13, v15 op_sel:[0,1] op_sel_hi:[1,0] neg_lo:[0,1] neg_hi:[0,1]
	v_pk_add_f16 v16, v16, v15 op_sel:[0,1] op_sel_hi:[1,0] neg_lo:[0,1] neg_hi:[0,1]
	;; [unrolled: 1-line block ×3, first 2 shown]
	v_bfi_b32 v12, s0, v12, v13
	v_bfi_b32 v7, s0, v16, v7
	ds_write_b32 v23, v12
	ds_write_b32 v14, v7 offset:972
	ds_read_b32 v7, v22
	ds_read_b32 v12, v14 offset:864
	s_waitcnt lgkmcnt(0)
	v_pk_add_f16 v13, v7, v12 neg_lo:[0,1] neg_hi:[0,1]
	v_pk_add_f16 v7, v7, v12
	v_bfi_b32 v12, s0, v13, v7
	v_bfi_b32 v7, s0, v7, v13
	v_pk_mul_f16 v12, v12, 0.5 op_sel_hi:[1,0]
	v_pk_mul_f16 v7, v7, 0.5 op_sel_hi:[1,0]
	s_waitcnt vmcnt(2)
	v_pk_fma_f16 v13, v11, v12, v7 op_sel:[1,0,0]
	v_pk_mul_f16 v15, v11, v12 op_sel_hi:[0,1]
	v_pk_fma_f16 v16, v11, v12, v7 op_sel:[1,0,0] neg_lo:[1,0,0] neg_hi:[1,0,0]
	v_pk_fma_f16 v7, v11, v12, v7 op_sel:[1,0,0] neg_lo:[0,0,1] neg_hi:[0,0,1]
	v_pk_add_f16 v11, v13, v15 op_sel:[0,1] op_sel_hi:[1,0]
	v_pk_add_f16 v12, v13, v15 op_sel:[0,1] op_sel_hi:[1,0] neg_lo:[0,1] neg_hi:[0,1]
	v_pk_add_f16 v13, v16, v15 op_sel:[0,1] op_sel_hi:[1,0] neg_lo:[0,1] neg_hi:[0,1]
	;; [unrolled: 1-line block ×3, first 2 shown]
	v_bfi_b32 v11, s0, v11, v12
	v_bfi_b32 v7, s0, v13, v7
	ds_write_b32 v22, v11
	ds_write_b32 v14, v7 offset:864
	ds_read_b32 v7, v9
	ds_read_b32 v11, v14 offset:756
	s_waitcnt lgkmcnt(0)
	v_pk_add_f16 v12, v7, v11 neg_lo:[0,1] neg_hi:[0,1]
	v_pk_add_f16 v7, v7, v11
	v_bfi_b32 v11, s0, v12, v7
	v_bfi_b32 v7, s0, v7, v12
	v_pk_mul_f16 v11, v11, 0.5 op_sel_hi:[1,0]
	v_pk_mul_f16 v7, v7, 0.5 op_sel_hi:[1,0]
	s_waitcnt vmcnt(1)
	v_pk_fma_f16 v12, v10, v11, v7 op_sel:[1,0,0]
	v_pk_mul_f16 v13, v10, v11 op_sel_hi:[0,1]
	v_pk_fma_f16 v15, v10, v11, v7 op_sel:[1,0,0] neg_lo:[1,0,0] neg_hi:[1,0,0]
	v_pk_fma_f16 v7, v10, v11, v7 op_sel:[1,0,0] neg_lo:[0,0,1] neg_hi:[0,0,1]
	v_pk_add_f16 v10, v12, v13 op_sel:[0,1] op_sel_hi:[1,0]
	v_pk_add_f16 v11, v12, v13 op_sel:[0,1] op_sel_hi:[1,0] neg_lo:[0,1] neg_hi:[0,1]
	v_pk_add_f16 v12, v15, v13 op_sel:[0,1] op_sel_hi:[1,0] neg_lo:[0,1] neg_hi:[0,1]
	;; [unrolled: 1-line block ×3, first 2 shown]
	v_bfi_b32 v10, s0, v10, v11
	v_bfi_b32 v7, s0, v12, v7
	ds_write_b32 v9, v10
	ds_write_b32 v14, v7 offset:756
	ds_read_b32 v7, v21 offset:432
	ds_read_b32 v9, v14 offset:648
	s_waitcnt lgkmcnt(0)
	v_pk_add_f16 v10, v7, v9 neg_lo:[0,1] neg_hi:[0,1]
	v_pk_add_f16 v7, v7, v9
	v_bfi_b32 v9, s0, v10, v7
	v_bfi_b32 v7, s0, v7, v10
	v_pk_mul_f16 v9, v9, 0.5 op_sel_hi:[1,0]
	v_pk_mul_f16 v7, v7, 0.5 op_sel_hi:[1,0]
	s_waitcnt vmcnt(0)
	v_pk_fma_f16 v10, v6, v9, v7 op_sel:[1,0,0]
	v_pk_mul_f16 v11, v6, v9 op_sel_hi:[0,1]
	v_pk_fma_f16 v12, v6, v9, v7 op_sel:[1,0,0] neg_lo:[1,0,0] neg_hi:[1,0,0]
	v_pk_fma_f16 v6, v6, v9, v7 op_sel:[1,0,0] neg_lo:[0,0,1] neg_hi:[0,0,1]
	v_pk_add_f16 v7, v10, v11 op_sel:[0,1] op_sel_hi:[1,0]
	v_pk_add_f16 v9, v10, v11 op_sel:[0,1] op_sel_hi:[1,0] neg_lo:[0,1] neg_hi:[0,1]
	v_pk_add_f16 v10, v12, v11 op_sel:[0,1] op_sel_hi:[1,0] neg_lo:[0,1] neg_hi:[0,1]
	;; [unrolled: 1-line block ×3, first 2 shown]
	v_bfi_b32 v7, s0, v7, v9
	v_bfi_b32 v6, s0, v10, v6
	ds_write_b32 v21, v7 offset:432
	ds_write_b32 v14, v6 offset:648
	s_waitcnt lgkmcnt(0)
	s_barrier
	s_and_saveexec_b64 s[0:1], vcc
	s_cbranch_execz .LBB0_32
; %bb.30:
	v_mul_lo_u32 v6, s5, v3
	v_mul_lo_u32 v4, s4, v4
	v_mad_u64_u32 v[9:10], s[0:1], s4, v3, 0
	v_lshl_add_u32 v3, v5, 2, v0
	v_mov_b32_e32 v0, s11
	v_add3_u32 v10, v10, v4, v6
	v_lshlrev_b64 v[9:10], 2, v[9:10]
	v_mov_b32_e32 v6, v8
	v_add_co_u32_e32 v4, vcc, s10, v9
	v_addc_co_u32_e32 v7, vcc, v0, v10, vcc
	v_lshlrev_b64 v[0:1], 2, v[1:2]
	ds_read2_b32 v[11:12], v3 offset1:27
	v_add_co_u32_e32 v0, vcc, v4, v0
	v_addc_co_u32_e32 v1, vcc, v7, v1, vcc
	v_lshlrev_b64 v[6:7], 2, v[5:6]
	ds_read2_b32 v[9:10], v3 offset0:54 offset1:81
	v_add_co_u32_e32 v6, vcc, v0, v6
	v_addc_co_u32_e32 v7, vcc, v1, v7, vcc
	s_waitcnt lgkmcnt(1)
	global_store_dword v[6:7], v11, off
	v_add_u32_e32 v7, 27, v5
	v_lshlrev_b64 v[6:7], 2, v[7:8]
	v_add_co_u32_e32 v6, vcc, v0, v6
	v_addc_co_u32_e32 v7, vcc, v1, v7, vcc
	global_store_dword v[6:7], v12, off
	v_add_u32_e32 v7, 54, v5
	v_lshlrev_b64 v[6:7], 2, v[7:8]
	v_add_co_u32_e32 v6, vcc, v0, v6
	v_addc_co_u32_e32 v7, vcc, v1, v7, vcc
	s_waitcnt lgkmcnt(0)
	global_store_dword v[6:7], v9, off
	v_add_u32_e32 v7, 0x51, v5
	v_lshlrev_b64 v[6:7], 2, v[7:8]
	v_add_co_u32_e32 v6, vcc, v0, v6
	v_addc_co_u32_e32 v7, vcc, v1, v7, vcc
	global_store_dword v[6:7], v10, off
	v_add_u32_e32 v7, 0x6c, v5
	ds_read2_b32 v[9:10], v3 offset0:108 offset1:135
	v_lshlrev_b64 v[6:7], 2, v[7:8]
	v_add_co_u32_e32 v6, vcc, v0, v6
	v_addc_co_u32_e32 v7, vcc, v1, v7, vcc
	s_waitcnt lgkmcnt(0)
	global_store_dword v[6:7], v9, off
	v_add_u32_e32 v7, 0x87, v5
	v_lshlrev_b64 v[6:7], 2, v[7:8]
	v_add_co_u32_e32 v6, vcc, v0, v6
	v_addc_co_u32_e32 v7, vcc, v1, v7, vcc
	global_store_dword v[6:7], v10, off
	v_add_u32_e32 v7, 0xa2, v5
	ds_read2_b32 v[9:10], v3 offset0:162 offset1:189
	;; [unrolled: 12-line block ×3, first 2 shown]
	v_lshlrev_b64 v[6:7], 2, v[7:8]
	v_add_co_u32_e32 v6, vcc, v0, v6
	v_addc_co_u32_e32 v7, vcc, v1, v7, vcc
	s_waitcnt lgkmcnt(0)
	global_store_dword v[6:7], v9, off
	v_add_u32_e32 v7, 0xf3, v5
	v_lshlrev_b64 v[6:7], 2, v[7:8]
	v_add_co_u32_e32 v6, vcc, v0, v6
	v_addc_co_u32_e32 v7, vcc, v1, v7, vcc
	v_cmp_eq_u32_e32 vcc, 26, v5
	global_store_dword v[6:7], v10, off
	s_and_b64 exec, exec, vcc
	s_cbranch_execz .LBB0_32
; %bb.31:
	ds_read_b32 v2, v3 offset:976
	s_waitcnt lgkmcnt(0)
	global_store_dword v[0:1], v2, off offset:1080
.LBB0_32:
	s_endpgm
	.section	.rodata,"a",@progbits
	.p2align	6, 0x0
	.amdhsa_kernel fft_rtc_fwd_len270_factors_10_3_3_3_wgs_108_tpt_27_halfLds_half_op_CI_CI_unitstride_sbrr_R2C_dirReg
		.amdhsa_group_segment_fixed_size 0
		.amdhsa_private_segment_fixed_size 0
		.amdhsa_kernarg_size 104
		.amdhsa_user_sgpr_count 6
		.amdhsa_user_sgpr_private_segment_buffer 1
		.amdhsa_user_sgpr_dispatch_ptr 0
		.amdhsa_user_sgpr_queue_ptr 0
		.amdhsa_user_sgpr_kernarg_segment_ptr 1
		.amdhsa_user_sgpr_dispatch_id 0
		.amdhsa_user_sgpr_flat_scratch_init 0
		.amdhsa_user_sgpr_private_segment_size 0
		.amdhsa_uses_dynamic_stack 0
		.amdhsa_system_sgpr_private_segment_wavefront_offset 0
		.amdhsa_system_sgpr_workgroup_id_x 1
		.amdhsa_system_sgpr_workgroup_id_y 0
		.amdhsa_system_sgpr_workgroup_id_z 0
		.amdhsa_system_sgpr_workgroup_info 0
		.amdhsa_system_vgpr_workitem_id 0
		.amdhsa_next_free_vgpr 55
		.amdhsa_next_free_sgpr 28
		.amdhsa_reserve_vcc 1
		.amdhsa_reserve_flat_scratch 0
		.amdhsa_float_round_mode_32 0
		.amdhsa_float_round_mode_16_64 0
		.amdhsa_float_denorm_mode_32 3
		.amdhsa_float_denorm_mode_16_64 3
		.amdhsa_dx10_clamp 1
		.amdhsa_ieee_mode 1
		.amdhsa_fp16_overflow 0
		.amdhsa_exception_fp_ieee_invalid_op 0
		.amdhsa_exception_fp_denorm_src 0
		.amdhsa_exception_fp_ieee_div_zero 0
		.amdhsa_exception_fp_ieee_overflow 0
		.amdhsa_exception_fp_ieee_underflow 0
		.amdhsa_exception_fp_ieee_inexact 0
		.amdhsa_exception_int_div_zero 0
	.end_amdhsa_kernel
	.text
.Lfunc_end0:
	.size	fft_rtc_fwd_len270_factors_10_3_3_3_wgs_108_tpt_27_halfLds_half_op_CI_CI_unitstride_sbrr_R2C_dirReg, .Lfunc_end0-fft_rtc_fwd_len270_factors_10_3_3_3_wgs_108_tpt_27_halfLds_half_op_CI_CI_unitstride_sbrr_R2C_dirReg
                                        ; -- End function
	.section	.AMDGPU.csdata,"",@progbits
; Kernel info:
; codeLenInByte = 7960
; NumSgprs: 32
; NumVgprs: 55
; ScratchSize: 0
; MemoryBound: 0
; FloatMode: 240
; IeeeMode: 1
; LDSByteSize: 0 bytes/workgroup (compile time only)
; SGPRBlocks: 3
; VGPRBlocks: 13
; NumSGPRsForWavesPerEU: 32
; NumVGPRsForWavesPerEU: 55
; Occupancy: 4
; WaveLimiterHint : 1
; COMPUTE_PGM_RSRC2:SCRATCH_EN: 0
; COMPUTE_PGM_RSRC2:USER_SGPR: 6
; COMPUTE_PGM_RSRC2:TRAP_HANDLER: 0
; COMPUTE_PGM_RSRC2:TGID_X_EN: 1
; COMPUTE_PGM_RSRC2:TGID_Y_EN: 0
; COMPUTE_PGM_RSRC2:TGID_Z_EN: 0
; COMPUTE_PGM_RSRC2:TIDIG_COMP_CNT: 0
	.type	__hip_cuid_c230e2d4e42bbd38,@object ; @__hip_cuid_c230e2d4e42bbd38
	.section	.bss,"aw",@nobits
	.globl	__hip_cuid_c230e2d4e42bbd38
__hip_cuid_c230e2d4e42bbd38:
	.byte	0                               ; 0x0
	.size	__hip_cuid_c230e2d4e42bbd38, 1

	.ident	"AMD clang version 19.0.0git (https://github.com/RadeonOpenCompute/llvm-project roc-6.4.0 25133 c7fe45cf4b819c5991fe208aaa96edf142730f1d)"
	.section	".note.GNU-stack","",@progbits
	.addrsig
	.addrsig_sym __hip_cuid_c230e2d4e42bbd38
	.amdgpu_metadata
---
amdhsa.kernels:
  - .args:
      - .actual_access:  read_only
        .address_space:  global
        .offset:         0
        .size:           8
        .value_kind:     global_buffer
      - .offset:         8
        .size:           8
        .value_kind:     by_value
      - .actual_access:  read_only
        .address_space:  global
        .offset:         16
        .size:           8
        .value_kind:     global_buffer
      - .actual_access:  read_only
        .address_space:  global
        .offset:         24
        .size:           8
        .value_kind:     global_buffer
      - .actual_access:  read_only
        .address_space:  global
        .offset:         32
        .size:           8
        .value_kind:     global_buffer
      - .offset:         40
        .size:           8
        .value_kind:     by_value
      - .actual_access:  read_only
        .address_space:  global
        .offset:         48
        .size:           8
        .value_kind:     global_buffer
      - .actual_access:  read_only
        .address_space:  global
        .offset:         56
        .size:           8
        .value_kind:     global_buffer
      - .offset:         64
        .size:           4
        .value_kind:     by_value
      - .actual_access:  read_only
        .address_space:  global
        .offset:         72
        .size:           8
        .value_kind:     global_buffer
      - .actual_access:  read_only
        .address_space:  global
        .offset:         80
        .size:           8
        .value_kind:     global_buffer
      - .actual_access:  read_only
        .address_space:  global
        .offset:         88
        .size:           8
        .value_kind:     global_buffer
      - .actual_access:  write_only
        .address_space:  global
        .offset:         96
        .size:           8
        .value_kind:     global_buffer
    .group_segment_fixed_size: 0
    .kernarg_segment_align: 8
    .kernarg_segment_size: 104
    .language:       OpenCL C
    .language_version:
      - 2
      - 0
    .max_flat_workgroup_size: 108
    .name:           fft_rtc_fwd_len270_factors_10_3_3_3_wgs_108_tpt_27_halfLds_half_op_CI_CI_unitstride_sbrr_R2C_dirReg
    .private_segment_fixed_size: 0
    .sgpr_count:     32
    .sgpr_spill_count: 0
    .symbol:         fft_rtc_fwd_len270_factors_10_3_3_3_wgs_108_tpt_27_halfLds_half_op_CI_CI_unitstride_sbrr_R2C_dirReg.kd
    .uniform_work_group_size: 1
    .uses_dynamic_stack: false
    .vgpr_count:     55
    .vgpr_spill_count: 0
    .wavefront_size: 64
amdhsa.target:   amdgcn-amd-amdhsa--gfx906
amdhsa.version:
  - 1
  - 2
...

	.end_amdgpu_metadata
